;; amdgpu-corpus repo=ROCm/rocFFT kind=compiled arch=gfx1030 opt=O3
	.text
	.amdgcn_target "amdgcn-amd-amdhsa--gfx1030"
	.amdhsa_code_object_version 6
	.protected	fft_rtc_back_len66_factors_6_11_wgs_253_tpt_11_sp_ip_CI_unitstride_sbrr_R2C_dirReg ; -- Begin function fft_rtc_back_len66_factors_6_11_wgs_253_tpt_11_sp_ip_CI_unitstride_sbrr_R2C_dirReg
	.globl	fft_rtc_back_len66_factors_6_11_wgs_253_tpt_11_sp_ip_CI_unitstride_sbrr_R2C_dirReg
	.p2align	8
	.type	fft_rtc_back_len66_factors_6_11_wgs_253_tpt_11_sp_ip_CI_unitstride_sbrr_R2C_dirReg,@function
fft_rtc_back_len66_factors_6_11_wgs_253_tpt_11_sp_ip_CI_unitstride_sbrr_R2C_dirReg: ; @fft_rtc_back_len66_factors_6_11_wgs_253_tpt_11_sp_ip_CI_unitstride_sbrr_R2C_dirReg
; %bb.0:
	s_load_dwordx4 s[8:11], s[4:5], 0x0
	v_mul_u32_u24_e32 v1, 0x1746, v0
	s_clause 0x1
	s_load_dwordx2 s[2:3], s[4:5], 0x50
	s_load_dwordx2 s[12:13], s[4:5], 0x18
	v_mov_b32_e32 v5, 0
	v_mov_b32_e32 v3, 0
	;; [unrolled: 1-line block ×3, first 2 shown]
	v_lshrrev_b32_e32 v1, 16, v1
	v_mad_u64_u32 v[1:2], null, s6, 23, v[1:2]
	v_mov_b32_e32 v2, v5
	v_mov_b32_e32 v10, v2
	;; [unrolled: 1-line block ×3, first 2 shown]
	s_waitcnt lgkmcnt(0)
	v_cmp_lt_u64_e64 s0, s[10:11], 2
	s_and_b32 vcc_lo, exec_lo, s0
	s_cbranch_vccnz .LBB0_8
; %bb.1:
	s_load_dwordx2 s[0:1], s[4:5], 0x10
	v_mov_b32_e32 v3, 0
	v_mov_b32_e32 v8, v2
	s_add_u32 s6, s12, 8
	v_mov_b32_e32 v4, 0
	v_mov_b32_e32 v7, v1
	s_addc_u32 s7, s13, 0
	s_mov_b64 s[16:17], 1
	s_waitcnt lgkmcnt(0)
	s_add_u32 s14, s0, 8
	s_addc_u32 s15, s1, 0
.LBB0_2:                                ; =>This Inner Loop Header: Depth=1
	s_load_dwordx2 s[18:19], s[14:15], 0x0
                                        ; implicit-def: $vgpr9_vgpr10
	s_mov_b32 s0, exec_lo
	s_waitcnt lgkmcnt(0)
	v_or_b32_e32 v6, s19, v8
	v_cmpx_ne_u64_e32 0, v[5:6]
	s_xor_b32 s1, exec_lo, s0
	s_cbranch_execz .LBB0_4
; %bb.3:                                ;   in Loop: Header=BB0_2 Depth=1
	v_cvt_f32_u32_e32 v2, s18
	v_cvt_f32_u32_e32 v6, s19
	s_sub_u32 s0, 0, s18
	s_subb_u32 s20, 0, s19
	v_fmac_f32_e32 v2, 0x4f800000, v6
	v_rcp_f32_e32 v2, v2
	v_mul_f32_e32 v2, 0x5f7ffffc, v2
	v_mul_f32_e32 v6, 0x2f800000, v2
	v_trunc_f32_e32 v6, v6
	v_fmac_f32_e32 v2, 0xcf800000, v6
	v_cvt_u32_f32_e32 v6, v6
	v_cvt_u32_f32_e32 v2, v2
	v_mul_lo_u32 v9, s0, v6
	v_mul_hi_u32 v10, s0, v2
	v_mul_lo_u32 v11, s20, v2
	v_add_nc_u32_e32 v9, v10, v9
	v_mul_lo_u32 v10, s0, v2
	v_add_nc_u32_e32 v9, v9, v11
	v_mul_hi_u32 v11, v2, v10
	v_mul_lo_u32 v12, v2, v9
	v_mul_hi_u32 v13, v2, v9
	v_mul_hi_u32 v14, v6, v10
	v_mul_lo_u32 v10, v6, v10
	v_mul_hi_u32 v15, v6, v9
	v_mul_lo_u32 v9, v6, v9
	v_add_co_u32 v11, vcc_lo, v11, v12
	v_add_co_ci_u32_e32 v12, vcc_lo, 0, v13, vcc_lo
	v_add_co_u32 v10, vcc_lo, v11, v10
	v_add_co_ci_u32_e32 v10, vcc_lo, v12, v14, vcc_lo
	v_add_co_ci_u32_e32 v11, vcc_lo, 0, v15, vcc_lo
	v_add_co_u32 v9, vcc_lo, v10, v9
	v_add_co_ci_u32_e32 v10, vcc_lo, 0, v11, vcc_lo
	v_add_co_u32 v2, vcc_lo, v2, v9
	v_add_co_ci_u32_e32 v6, vcc_lo, v6, v10, vcc_lo
	v_mul_hi_u32 v9, s0, v2
	v_mul_lo_u32 v11, s20, v2
	v_mul_lo_u32 v10, s0, v6
	v_add_nc_u32_e32 v9, v9, v10
	v_mul_lo_u32 v10, s0, v2
	v_add_nc_u32_e32 v9, v9, v11
	v_mul_hi_u32 v11, v2, v10
	v_mul_lo_u32 v12, v2, v9
	v_mul_hi_u32 v13, v2, v9
	v_mul_hi_u32 v14, v6, v10
	v_mul_lo_u32 v10, v6, v10
	v_mul_hi_u32 v15, v6, v9
	v_mul_lo_u32 v9, v6, v9
	v_add_co_u32 v11, vcc_lo, v11, v12
	v_add_co_ci_u32_e32 v12, vcc_lo, 0, v13, vcc_lo
	v_add_co_u32 v10, vcc_lo, v11, v10
	v_add_co_ci_u32_e32 v10, vcc_lo, v12, v14, vcc_lo
	v_add_co_ci_u32_e32 v11, vcc_lo, 0, v15, vcc_lo
	v_add_co_u32 v9, vcc_lo, v10, v9
	v_add_co_ci_u32_e32 v10, vcc_lo, 0, v11, vcc_lo
	v_add_co_u32 v2, vcc_lo, v2, v9
	v_add_co_ci_u32_e32 v6, vcc_lo, v6, v10, vcc_lo
	v_mul_hi_u32 v15, v7, v2
	v_mad_u64_u32 v[11:12], null, v8, v2, 0
	v_mad_u64_u32 v[9:10], null, v7, v6, 0
	v_mad_u64_u32 v[13:14], null, v8, v6, 0
	v_add_co_u32 v2, vcc_lo, v15, v9
	v_add_co_ci_u32_e32 v6, vcc_lo, 0, v10, vcc_lo
	v_add_co_u32 v2, vcc_lo, v2, v11
	v_add_co_ci_u32_e32 v2, vcc_lo, v6, v12, vcc_lo
	v_add_co_ci_u32_e32 v6, vcc_lo, 0, v14, vcc_lo
	v_add_co_u32 v2, vcc_lo, v2, v13
	v_add_co_ci_u32_e32 v6, vcc_lo, 0, v6, vcc_lo
	v_mul_lo_u32 v11, s19, v2
	v_mad_u64_u32 v[9:10], null, s18, v2, 0
	v_mul_lo_u32 v12, s18, v6
	v_sub_co_u32 v9, vcc_lo, v7, v9
	v_add3_u32 v10, v10, v12, v11
	v_sub_nc_u32_e32 v11, v8, v10
	v_subrev_co_ci_u32_e64 v11, s0, s19, v11, vcc_lo
	v_add_co_u32 v12, s0, v2, 2
	v_add_co_ci_u32_e64 v13, s0, 0, v6, s0
	v_sub_co_u32 v14, s0, v9, s18
	v_sub_co_ci_u32_e32 v10, vcc_lo, v8, v10, vcc_lo
	v_subrev_co_ci_u32_e64 v11, s0, 0, v11, s0
	v_cmp_le_u32_e32 vcc_lo, s18, v14
	v_cmp_eq_u32_e64 s0, s19, v10
	v_cndmask_b32_e64 v14, 0, -1, vcc_lo
	v_cmp_le_u32_e32 vcc_lo, s19, v11
	v_cndmask_b32_e64 v15, 0, -1, vcc_lo
	v_cmp_le_u32_e32 vcc_lo, s18, v9
	;; [unrolled: 2-line block ×3, first 2 shown]
	v_cndmask_b32_e64 v16, 0, -1, vcc_lo
	v_cmp_eq_u32_e32 vcc_lo, s19, v11
	v_cndmask_b32_e64 v9, v16, v9, s0
	v_cndmask_b32_e32 v11, v15, v14, vcc_lo
	v_add_co_u32 v14, vcc_lo, v2, 1
	v_add_co_ci_u32_e32 v15, vcc_lo, 0, v6, vcc_lo
	v_cmp_ne_u32_e32 vcc_lo, 0, v11
	v_cndmask_b32_e32 v10, v15, v13, vcc_lo
	v_cndmask_b32_e32 v11, v14, v12, vcc_lo
	v_cmp_ne_u32_e32 vcc_lo, 0, v9
	v_cndmask_b32_e32 v10, v6, v10, vcc_lo
	v_cndmask_b32_e32 v9, v2, v11, vcc_lo
.LBB0_4:                                ;   in Loop: Header=BB0_2 Depth=1
	s_andn2_saveexec_b32 s0, s1
	s_cbranch_execz .LBB0_6
; %bb.5:                                ;   in Loop: Header=BB0_2 Depth=1
	v_cvt_f32_u32_e32 v2, s18
	s_sub_i32 s1, 0, s18
	v_rcp_iflag_f32_e32 v2, v2
	v_mul_f32_e32 v2, 0x4f7ffffe, v2
	v_cvt_u32_f32_e32 v2, v2
	v_mul_lo_u32 v6, s1, v2
	v_mul_hi_u32 v6, v2, v6
	v_add_nc_u32_e32 v2, v2, v6
	v_mul_hi_u32 v2, v7, v2
	v_mul_lo_u32 v6, v2, s18
	v_add_nc_u32_e32 v9, 1, v2
	v_sub_nc_u32_e32 v6, v7, v6
	v_subrev_nc_u32_e32 v10, s18, v6
	v_cmp_le_u32_e32 vcc_lo, s18, v6
	v_cndmask_b32_e32 v6, v6, v10, vcc_lo
	v_cndmask_b32_e32 v2, v2, v9, vcc_lo
	v_mov_b32_e32 v10, v5
	v_cmp_le_u32_e32 vcc_lo, s18, v6
	v_add_nc_u32_e32 v9, 1, v2
	v_cndmask_b32_e32 v9, v2, v9, vcc_lo
.LBB0_6:                                ;   in Loop: Header=BB0_2 Depth=1
	s_or_b32 exec_lo, exec_lo, s0
	s_load_dwordx2 s[0:1], s[6:7], 0x0
	v_mul_lo_u32 v2, v10, s18
	v_mul_lo_u32 v6, v9, s19
	v_mad_u64_u32 v[11:12], null, v9, s18, 0
	s_add_u32 s16, s16, 1
	s_addc_u32 s17, s17, 0
	s_add_u32 s6, s6, 8
	s_addc_u32 s7, s7, 0
	;; [unrolled: 2-line block ×3, first 2 shown]
	v_add3_u32 v2, v12, v6, v2
	v_sub_co_u32 v6, vcc_lo, v7, v11
	v_sub_co_ci_u32_e32 v2, vcc_lo, v8, v2, vcc_lo
	s_waitcnt lgkmcnt(0)
	v_mul_lo_u32 v7, s1, v6
	v_mul_lo_u32 v2, s0, v2
	v_mad_u64_u32 v[3:4], null, s0, v6, v[3:4]
	v_cmp_ge_u64_e64 s0, s[16:17], s[10:11]
	s_and_b32 vcc_lo, exec_lo, s0
	v_add3_u32 v4, v7, v4, v2
	s_cbranch_vccnz .LBB0_8
; %bb.7:                                ;   in Loop: Header=BB0_2 Depth=1
	v_mov_b32_e32 v7, v9
	v_mov_b32_e32 v8, v10
	s_branch .LBB0_2
.LBB0_8:
	s_lshl_b64 s[0:1], s[10:11], 3
	v_mul_hi_u32 v2, 0xb21642c9, v1
	s_add_u32 s0, s12, s0
	s_addc_u32 s1, s13, s1
	s_load_dwordx2 s[4:5], s[4:5], 0x20
	s_load_dwordx2 s[0:1], s[0:1], 0x0
	v_mul_hi_u32 v5, 0x1745d175, v0
	v_lshrrev_b32_e32 v2, 4, v2
	v_mul_lo_u32 v6, v2, 23
	v_sub_nc_u32_e32 v1, v1, v6
	s_waitcnt lgkmcnt(0)
	v_cmp_gt_u64_e32 vcc_lo, s[4:5], v[9:10]
	v_mul_lo_u32 v7, s0, v10
	v_mul_lo_u32 v8, s1, v9
	v_mad_u64_u32 v[2:3], null, s0, v9, v[3:4]
	v_mul_u32_u24_e32 v4, 11, v5
	v_mul_u32_u24_e32 v1, 0x43, v1
	v_sub_nc_u32_e32 v12, v0, v4
	v_add3_u32 v3, v8, v3, v7
	v_lshlrev_b32_e32 v0, 3, v1
	v_lshlrev_b32_e32 v27, 3, v12
	v_lshlrev_b64 v[14:15], 3, v[2:3]
	s_and_saveexec_b32 s1, vcc_lo
	s_cbranch_execz .LBB0_10
; %bb.9:
	v_mov_b32_e32 v13, 0
	v_add_co_u32 v3, s0, s2, v14
	v_add_co_ci_u32_e64 v4, s0, s3, v15, s0
	v_lshlrev_b64 v[1:2], 3, v[12:13]
	v_add3_u32 v11, 0, v0, v27
	v_add_co_u32 v1, s0, v3, v1
	v_add_co_ci_u32_e64 v2, s0, v4, v2, s0
	s_clause 0x5
	global_load_dwordx2 v[3:4], v[1:2], off
	global_load_dwordx2 v[5:6], v[1:2], off offset:88
	global_load_dwordx2 v[7:8], v[1:2], off offset:176
	;; [unrolled: 1-line block ×5, first 2 shown]
	s_waitcnt vmcnt(4)
	ds_write2_b64 v11, v[3:4], v[5:6] offset1:11
	s_waitcnt vmcnt(2)
	ds_write2_b64 v11, v[7:8], v[9:10] offset0:22 offset1:33
	s_waitcnt vmcnt(0)
	ds_write2_b64 v11, v[16:17], v[1:2] offset0:44 offset1:55
.LBB0_10:
	s_or_b32 exec_lo, exec_lo, s1
	v_add3_u32 v28, 0, v27, v0
	v_add_nc_u32_e32 v13, 0, v0
	s_waitcnt lgkmcnt(0)
	s_barrier
	buffer_gl0_inv
	ds_read2_b64 v[0:3], v28 offset0:11 offset1:22
	ds_read2_b64 v[4:7], v28 offset0:33 offset1:44
	v_add_nc_u32_e32 v26, v13, v27
	v_cmp_gt_u32_e64 s0, 6, v12
	ds_read_b64 v[8:9], v26
	ds_read_b64 v[10:11], v28 offset:440
	s_waitcnt lgkmcnt(0)
	s_barrier
	buffer_gl0_inv
	v_add_f32_e32 v16, v2, v6
	v_add_f32_e32 v18, v3, v7
	;; [unrolled: 1-line block ×3, first 2 shown]
	v_sub_f32_e32 v17, v3, v7
	v_sub_f32_e32 v19, v2, v6
	v_add_f32_e32 v21, v1, v5
	v_add_f32_e32 v2, v8, v2
	v_fma_f32 v8, -0.5, v16, v8
	v_add_f32_e32 v3, v9, v3
	v_fmac_f32_e32 v9, -0.5, v18
	v_add_f32_e32 v18, v20, v10
	v_add_f32_e32 v16, v4, v10
	v_sub_f32_e32 v20, v5, v11
	v_add_f32_e32 v5, v5, v11
	v_sub_f32_e32 v4, v4, v10
	v_add_f32_e32 v21, v21, v11
	v_fma_f32 v10, -0.5, v16, v0
	v_add_f32_e32 v2, v2, v6
	v_fma_f32 v0, -0.5, v5, v1
	v_add_f32_e32 v1, v3, v7
	v_fmamk_f32 v3, v19, 0x3f5db3d7, v9
	v_fmac_f32_e32 v9, 0xbf5db3d7, v19
	v_fmamk_f32 v5, v20, 0xbf5db3d7, v10
	v_fmamk_f32 v7, v4, 0x3f5db3d7, v0
	v_fmac_f32_e32 v0, 0xbf5db3d7, v4
	v_fmac_f32_e32 v10, 0x3f5db3d7, v20
	v_fmamk_f32 v6, v17, 0xbf5db3d7, v8
	v_fmac_f32_e32 v8, 0x3f5db3d7, v17
	v_mul_f32_e32 v4, 0xbf5db3d7, v7
	v_mul_f32_e32 v11, 0xbf5db3d7, v0
	v_mul_f32_e32 v7, 0.5, v7
	v_mul_f32_e32 v19, -0.5, v0
	v_add_f32_e32 v16, v2, v18
	v_fmac_f32_e32 v4, 0.5, v5
	v_fmac_f32_e32 v11, -0.5, v10
	v_fmac_f32_e32 v7, 0x3f5db3d7, v5
	v_fmac_f32_e32 v19, 0x3f5db3d7, v10
	v_add_f32_e32 v17, v1, v21
	v_sub_f32_e32 v0, v2, v18
	v_sub_f32_e32 v1, v1, v21
	v_add_f32_e32 v24, v6, v4
	v_add_f32_e32 v22, v8, v11
	;; [unrolled: 1-line block ×4, first 2 shown]
	v_sub_f32_e32 v20, v6, v4
	v_sub_f32_e32 v18, v8, v11
	;; [unrolled: 1-line block ×3, first 2 shown]
	v_mad_u32_u24 v2, v12, 40, v28
	v_sub_f32_e32 v19, v9, v19
	ds_write2_b64 v2, v[16:17], v[24:25] offset1:1
	ds_write2_b64 v2, v[22:23], v[0:1] offset0:2 offset1:3
	ds_write2_b64 v2, v[20:21], v[18:19] offset0:4 offset1:5
	s_waitcnt lgkmcnt(0)
	s_barrier
	buffer_gl0_inv
                                        ; implicit-def: $vgpr11
                                        ; implicit-def: $vgpr7
                                        ; implicit-def: $vgpr3
	s_and_saveexec_b32 s1, s0
	s_cbranch_execz .LBB0_12
; %bb.11:
	ds_read2_b64 v[0:3], v28 offset0:30 offset1:36
	ds_read2_b64 v[22:25], v28 offset0:18 offset1:24
	;; [unrolled: 1-line block ×3, first 2 shown]
	ds_read_b64 v[16:17], v26
	ds_read2_b64 v[4:7], v28 offset0:42 offset1:48
	ds_read2_b64 v[8:11], v28 offset0:54 offset1:60
	s_waitcnt lgkmcnt(5)
	v_mov_b32_e32 v19, v1
	v_mov_b32_e32 v18, v0
	s_waitcnt lgkmcnt(4)
	v_mov_b32_e32 v21, v25
	v_mov_b32_e32 v20, v24
	;; [unrolled: 1-line block ×4, first 2 shown]
	s_waitcnt lgkmcnt(3)
	v_mov_b32_e32 v23, v32
	v_mov_b32_e32 v22, v31
	;; [unrolled: 1-line block ×4, first 2 shown]
.LBB0_12:
	s_or_b32 exec_lo, exec_lo, s1
	s_waitcnt lgkmcnt(0)
	s_barrier
	buffer_gl0_inv
	s_and_saveexec_b32 s1, s0
	s_cbranch_execz .LBB0_14
; %bb.13:
	v_add_nc_u32_e32 v29, -6, v12
	v_mov_b32_e32 v30, 0
	v_cndmask_b32_e64 v29, v29, v12, s0
	v_mul_i32_i24_e32 v29, 10, v29
	v_lshlrev_b64 v[29:30], 3, v[29:30]
	v_add_co_u32 v29, s0, s8, v29
	v_add_co_ci_u32_e64 v30, s0, s9, v30, s0
	s_clause 0x4
	global_load_dwordx4 v[38:41], v[29:30], off offset:64
	global_load_dwordx4 v[42:45], v[29:30], off
	global_load_dwordx4 v[46:49], v[29:30], off offset:48
	global_load_dwordx4 v[50:53], v[29:30], off offset:16
	;; [unrolled: 1-line block ×3, first 2 shown]
	s_waitcnt vmcnt(4)
	v_mul_f32_e32 v58, v10, v41
	s_waitcnt vmcnt(3)
	v_mul_f32_e32 v59, v24, v43
	v_mul_f32_e32 v43, v25, v43
	;; [unrolled: 1-line block ×7, first 2 shown]
	s_waitcnt vmcnt(2)
	v_mul_f32_e32 v39, v6, v49
	s_waitcnt vmcnt(1)
	v_mul_f32_e32 v45, v0, v51
	v_mul_f32_e32 v36, v1, v51
	;; [unrolled: 1-line block ×7, first 2 shown]
	s_waitcnt vmcnt(0)
	v_mul_f32_e32 v47, v2, v57
	v_mul_f32_e32 v53, v18, v55
	;; [unrolled: 1-line block ×3, first 2 shown]
	v_fma_f32 v25, v25, v42, -v59
	v_fmac_f32_e32 v43, v24, v42
	v_fma_f32 v11, v11, v40, -v58
	v_mul_f32_e32 v33, v3, v57
	v_fma_f32 v23, v23, v44, -v60
	v_fmac_f32_e32 v37, v22, v44
	v_fmac_f32_e32 v29, v10, v40
	v_fma_f32 v9, v9, v38, -v41
	v_fmac_f32_e32 v30, v8, v38
	v_fma_f32 v7, v7, v48, -v39
	v_fma_f32 v8, v1, v50, -v45
	v_fmac_f32_e32 v36, v0, v50
	v_fma_f32 v0, v5, v46, -v49
	v_fma_f32 v5, v21, v52, -v51
	v_fma_f32 v1, v3, v56, -v47
	v_fma_f32 v3, v19, v54, -v53
	v_fmac_f32_e32 v35, v18, v54
	v_add_f32_e32 v18, v25, v11
	v_sub_f32_e32 v21, v25, v11
	v_add_f32_e32 v22, v17, v25
	v_add_f32_e32 v24, v16, v43
	v_fmac_f32_e32 v31, v6, v48
	v_fmac_f32_e32 v34, v20, v52
	;; [unrolled: 1-line block ×4, first 2 shown]
	v_sub_f32_e32 v6, v43, v29
	v_add_f32_e32 v20, v23, v9
	v_add_f32_e32 v19, v8, v7
	v_add_f32_e32 v10, v43, v29
	v_add_f32_e32 v25, v5, v0
	v_add_f32_e32 v39, v3, v1
	v_sub_f32_e32 v41, v23, v9
	v_sub_f32_e32 v43, v8, v7
	;; [unrolled: 1-line block ×4, first 2 shown]
	v_mul_f32_e32 v49, 0xbf75a155, v18
	v_mul_f32_e32 v52, 0xbe903f40, v21
	;; [unrolled: 1-line block ×8, first 2 shown]
	v_add_f32_e32 v22, v22, v23
	v_add_f32_e32 v23, v24, v37
	v_sub_f32_e32 v4, v37, v30
	v_sub_f32_e32 v2, v36, v31
	v_sub_f32_e32 v38, v34, v32
	v_sub_f32_e32 v40, v35, v33
	v_add_f32_e32 v42, v37, v30
	v_add_f32_e32 v44, v36, v31
	;; [unrolled: 1-line block ×4, first 2 shown]
	v_mul_f32_e32 v50, 0x3f575c64, v20
	v_mul_f32_e32 v51, 0xbf27a4f4, v19
	v_mul_f32_e32 v54, 0xbe11bafb, v20
	v_mul_f32_e32 v55, 0x3f575c64, v19
	v_mul_f32_e32 v58, 0xbf75a155, v20
	v_mul_f32_e32 v59, 0x3ed4b147, v19
	v_mul_f32_e32 v62, 0xbf27a4f4, v20
	v_mul_f32_e32 v18, 0x3f575c64, v18
	v_mul_f32_e32 v20, 0x3ed4b147, v20
	v_mul_f32_e32 v21, 0xbf0a6770, v21
	v_mul_f32_e32 v64, 0xbf75a155, v19
	v_mul_f32_e32 v19, 0xbe11bafb, v19
	v_mul_f32_e32 v65, 0x3ed4b147, v25
	v_mul_f32_e32 v66, 0xbf75a155, v25
	v_mul_f32_e32 v67, 0x3f575c64, v25
	v_mul_f32_e32 v68, 0xbe11bafb, v25
	v_mul_f32_e32 v25, 0xbf27a4f4, v25
	v_mul_f32_e32 v69, 0xbe11bafb, v39
	v_mul_f32_e32 v70, 0x3ed4b147, v39
	v_mul_f32_e32 v71, 0xbf27a4f4, v39
	v_mul_f32_e32 v72, 0x3f575c64, v39
	v_mul_f32_e32 v39, 0xbf75a155, v39
	v_mul_f32_e32 v24, 0x3f0a6770, v41
	v_mul_f32_e32 v37, 0x3f7d64f0, v41
	v_mul_f32_e32 v73, 0x3e903f40, v41
	v_mul_f32_e32 v74, 0xbf4178ce, v41
	v_mul_f32_e32 v41, 0xbf68dda4, v41
	v_mul_f32_e32 v75, 0xbf4178ce, v43
	v_mul_f32_e32 v76, 0xbf0a6770, v43
	v_mul_f32_e32 v77, 0x3f68dda4, v43
	v_mul_f32_e32 v78, 0x3e903f40, v43
	v_mul_f32_e32 v43, 0xbf7d64f0, v43
	v_mul_f32_e32 v79, 0x3f68dda4, v45
	v_mul_f32_e32 v80, 0xbe903f40, v45
	v_mul_f32_e32 v81, 0xbf0a6770, v45
	v_mul_f32_e32 v82, 0x3f7d64f0, v45
	v_mul_f32_e32 v45, 0xbf4178ce, v45
	v_mul_f32_e32 v83, 0xbf7d64f0, v47
	v_mul_f32_e32 v84, 0x3f68dda4, v47
	v_mul_f32_e32 v85, 0xbf4178ce, v47
	v_mul_f32_e32 v86, 0x3f0a6770, v47
	v_mul_f32_e32 v47, 0xbe903f40, v47
	v_fmamk_f32 v87, v6, 0x3e903f40, v49
	v_fmamk_f32 v89, v10, 0xbf75a155, v52
	;; [unrolled: 1-line block ×8, first 2 shown]
	v_add_f32_e32 v8, v22, v8
	v_add_f32_e32 v22, v23, v36
	v_fmamk_f32 v88, v4, 0xbf0a6770, v50
	v_fmamk_f32 v91, v4, 0xbf7d64f0, v54
	;; [unrolled: 1-line block ×3, first 2 shown]
	v_fmac_f32_e32 v49, 0xbe903f40, v6
	v_fmac_f32_e32 v53, 0xbf4178ce, v6
	;; [unrolled: 1-line block ×5, first 2 shown]
	v_fmamk_f32 v6, v10, 0x3f575c64, v21
	v_fma_f32 v52, 0xbf75a155, v10, -v52
	v_fma_f32 v56, 0xbf27a4f4, v10, -v56
	;; [unrolled: 1-line block ×5, first 2 shown]
	v_fmamk_f32 v21, v4, 0xbe903f40, v58
	v_fmamk_f32 v98, v4, 0x3f4178ce, v62
	;; [unrolled: 1-line block ×3, first 2 shown]
	v_fmac_f32_e32 v50, 0x3f0a6770, v4
	v_fmac_f32_e32 v54, 0x3f7d64f0, v4
	;; [unrolled: 1-line block ×5, first 2 shown]
	v_fmamk_f32 v4, v2, 0x3f4178ce, v51
	v_fmac_f32_e32 v51, 0xbf4178ce, v2
	v_fmamk_f32 v100, v2, 0x3f0a6770, v55
	v_fmac_f32_e32 v55, 0xbf0a6770, v2
	;; [unrolled: 2-line block ×15, first 2 shown]
	v_fmamk_f32 v40, v42, 0x3f575c64, v24
	v_fma_f32 v24, 0x3f575c64, v42, -v24
	v_fmamk_f32 v112, v42, 0xbe11bafb, v37
	v_fma_f32 v37, 0xbe11bafb, v42, -v37
	v_fmamk_f32 v113, v42, 0xbf75a155, v73
	v_fma_f32 v73, 0xbf75a155, v42, -v73
	v_fmamk_f32 v114, v42, 0xbf27a4f4, v74
	v_fma_f32 v74, 0xbf27a4f4, v42, -v74
	v_fmamk_f32 v115, v42, 0x3ed4b147, v41
	v_fma_f32 v41, 0x3ed4b147, v42, -v41
	v_fmamk_f32 v23, v44, 0xbf27a4f4, v75
	v_fma_f32 v36, 0xbf27a4f4, v44, -v75
	v_fmamk_f32 v42, v44, 0x3f575c64, v76
	v_fma_f32 v75, 0x3f575c64, v44, -v76
	v_fmamk_f32 v76, v44, 0x3ed4b147, v77
	v_fma_f32 v77, 0x3ed4b147, v44, -v77
	v_fmamk_f32 v116, v44, 0xbf75a155, v78
	v_fma_f32 v78, 0xbf75a155, v44, -v78
	v_fmamk_f32 v117, v44, 0xbe11bafb, v43
	v_fma_f32 v43, 0xbe11bafb, v44, -v43
	v_fmamk_f32 v44, v46, 0x3ed4b147, v79
	v_fma_f32 v79, 0x3ed4b147, v46, -v79
	v_fmamk_f32 v118, v46, 0xbf75a155, v80
	v_fma_f32 v80, 0xbf75a155, v46, -v80
	v_fmamk_f32 v119, v46, 0x3f575c64, v81
	v_fma_f32 v81, 0x3f575c64, v46, -v81
	v_fmamk_f32 v120, v46, 0xbe11bafb, v82
	v_fma_f32 v82, 0xbe11bafb, v46, -v82
	v_fmamk_f32 v121, v46, 0xbf27a4f4, v45
	v_fma_f32 v45, 0xbf27a4f4, v46, -v45
	v_fmamk_f32 v46, v48, 0xbe11bafb, v83
	v_fma_f32 v83, 0xbe11bafb, v48, -v83
	v_fmamk_f32 v122, v48, 0x3ed4b147, v84
	v_fma_f32 v84, 0x3ed4b147, v48, -v84
	v_fmamk_f32 v123, v48, 0xbf27a4f4, v85
	v_fma_f32 v85, 0xbf27a4f4, v48, -v85
	v_fmamk_f32 v124, v48, 0x3f575c64, v86
	v_fma_f32 v86, 0x3f575c64, v48, -v86
	v_fmamk_f32 v125, v48, 0xbf75a155, v47
	v_fma_f32 v47, 0xbf75a155, v48, -v47
	v_add_f32_e32 v48, v17, v87
	v_add_f32_e32 v87, v16, v89
	v_add_f32_e32 v89, v17, v90
	v_add_f32_e32 v90, v16, v92
	v_add_f32_e32 v92, v17, v93
	v_add_f32_e32 v93, v16, v94
	v_add_f32_e32 v94, v17, v95
	v_add_f32_e32 v95, v16, v96
	v_add_f32_e32 v5, v8, v5
	v_add_f32_e32 v8, v22, v34
	v_add_f32_e32 v96, v17, v97
	v_add_f32_e32 v6, v16, v6
	v_add_f32_e32 v49, v17, v49
	v_add_f32_e32 v52, v16, v52
	v_add_f32_e32 v53, v17, v53
	v_add_f32_e32 v56, v16, v56
	v_add_f32_e32 v57, v17, v57
	v_add_f32_e32 v60, v16, v60
	v_add_f32_e32 v61, v17, v61
	v_add_f32_e32 v63, v16, v63
	v_add_f32_e32 v17, v17, v18
	v_add_f32_e32 v10, v16, v10
	v_add_f32_e32 v16, v88, v48
	v_add_f32_e32 v18, v40, v87
	v_add_f32_e32 v22, v91, v89
	v_add_f32_e32 v34, v112, v90
	v_add_f32_e32 v40, v113, v93
	v_add_f32_e32 v87, v114, v95
	v_add_f32_e32 v3, v5, v3
	v_add_f32_e32 v5, v8, v35
	v_add_f32_e32 v6, v115, v6
	v_add_f32_e32 v8, v50, v49
	v_add_f32_e32 v24, v24, v52
	v_add_f32_e32 v17, v20, v17
	v_add_f32_e32 v4, v4, v16
	v_add_f32_e32 v16, v23, v18
	v_add_f32_e32 v18, v100, v22
	v_add_f32_e32 v20, v42, v34
	v_add_f32_e32 v22, v76, v40
	v_add_f32_e32 v34, v116, v87
	v_add_f32_e32 v1, v3, v1
	v_add_f32_e32 v3, v5, v33
	v_add_f32_e32 v21, v21, v92
	v_add_f32_e32 v48, v98, v94
	v_add_f32_e32 v88, v99, v96
	v_add_f32_e32 v35, v54, v53
	v_add_f32_e32 v37, v37, v56
	v_add_f32_e32 v49, v58, v57
	v_add_f32_e32 v50, v73, v60
	v_add_f32_e32 v6, v117, v6
	v_add_f32_e32 v5, v51, v8
	v_add_f32_e32 v8, v36, v24
	v_add_f32_e32 v2, v2, v4
	v_add_f32_e32 v4, v44, v16
	v_add_f32_e32 v16, v104, v18
	v_add_f32_e32 v18, v118, v20
	v_add_f32_e32 v20, v119, v22
	v_add_f32_e32 v22, v120, v34
	v_add_f32_e32 v34, v1, v0
	v_add_f32_e32 v32, v3, v32
	v_add_f32_e32 v52, v62, v61
	v_add_f32_e32 v53, v74, v63
	v_add_f32_e32 v10, v41, v10
	v_add_f32_e32 v21, v101, v21
	v_add_f32_e32 v23, v102, v48
	v_add_f32_e32 v40, v103, v88
	v_add_f32_e32 v24, v55, v35
	v_add_f32_e32 v33, v75, v37
	v_add_f32_e32 v35, v59, v49
	v_add_f32_e32 v36, v77, v50
	v_add_f32_e32 v6, v121, v6
	v_add_f32_e32 v8, v79, v8
	v_add_f32_e32 v34, v34, v7
	v_add_f32_e32 v31, v32, v31
	v_add_f32_e32 v37, v64, v52
	v_add_f32_e32 v41, v78, v53
	v_add_f32_e32 v17, v19, v17
	v_add_f32_e32 v10, v43, v10
	v_add_f32_e32 v19, v105, v21
	v_add_f32_e32 v21, v106, v23
	v_add_f32_e32 v23, v107, v40
	v_add_f32_e32 v40, v65, v5
	v_add_f32_e32 v24, v66, v24
	v_add_f32_e32 v33, v80, v33
	v_add_f32_e32 v35, v67, v35
	v_add_f32_e32 v36, v81, v36
	v_add_f32_e32 v1, v38, v2
	v_add_f32_e32 v2, v122, v18
	v_add_f32_e32 v18, v125, v6
	v_add_f32_e32 v6, v83, v8
	v_add_f32_e32 v8, v34, v9
	v_add_f32_e32 v31, v31, v30
	v_add_f32_e32 v37, v68, v37
	v_add_f32_e32 v41, v82, v41
	v_add_f32_e32 v25, v25, v17
	v_add_f32_e32 v42, v45, v10
	v_add_f32_e32 v3, v108, v16
	v_add_f32_e32 v5, v109, v19
	v_add_f32_e32 v17, v110, v21
	v_add_f32_e32 v16, v124, v22
	v_add_f32_e32 v19, v111, v23
	v_add_f32_e32 v0, v46, v4
	v_add_f32_e32 v4, v123, v20
	v_add_f32_e32 v7, v69, v40
	v_add_f32_e32 v21, v70, v24
	v_add_f32_e32 v20, v84, v33
	v_add_f32_e32 v23, v71, v35
	v_add_f32_e32 v22, v85, v36
	v_add_f32_e32 v30, v8, v11
	v_add_f32_e32 v29, v31, v29
	v_add_f32_e32 v10, v72, v37
	v_add_f32_e32 v9, v86, v41
	v_add_f32_e32 v25, v39, v25
	v_add_f32_e32 v24, v47, v42
	ds_write2_b64 v28, v[18:19], v[16:17] offset0:6 offset1:12
	ds_write2_b64 v28, v[4:5], v[2:3] offset0:18 offset1:24
	;; [unrolled: 1-line block ×4, first 2 shown]
	ds_write_b64 v26, v[29:30]
	ds_write2_b64 v28, v[9:10], v[24:25] offset0:54 offset1:60
.LBB0_14:
	s_or_b32 exec_lo, exec_lo, s1
	s_waitcnt lgkmcnt(0)
	s_barrier
	buffer_gl0_inv
	ds_read_b64 v[0:1], v26
	v_sub_nc_u32_e32 v4, v13, v27
	s_mov_b32 s1, exec_lo
                                        ; implicit-def: $vgpr6
                                        ; implicit-def: $vgpr5
                                        ; implicit-def: $vgpr2_vgpr3
	v_cmpx_ne_u32_e32 0, v12
	s_xor_b32 s1, exec_lo, s1
	s_cbranch_execz .LBB0_16
; %bb.15:
	v_mov_b32_e32 v13, 0
	ds_read_b64 v[5:6], v4 offset:528
	v_lshlrev_b64 v[2:3], 3, v[12:13]
	v_add_co_u32 v2, s0, s8, v2
	v_add_co_ci_u32_e64 v3, s0, s9, v3, s0
	global_load_dwordx2 v[2:3], v[2:3], off offset:480
	s_waitcnt lgkmcnt(0)
	v_sub_f32_e32 v7, v0, v5
	v_add_f32_e32 v8, v6, v1
	v_sub_f32_e32 v1, v1, v6
	v_add_f32_e32 v0, v5, v0
	v_mul_f32_e32 v6, 0.5, v7
	v_mul_f32_e32 v7, 0.5, v8
	;; [unrolled: 1-line block ×3, first 2 shown]
	s_waitcnt vmcnt(0)
	v_mul_f32_e32 v8, v3, v6
	v_fma_f32 v9, v7, v3, v1
	v_fma_f32 v1, v7, v3, -v1
	v_fma_f32 v5, 0.5, v0, v8
	v_fma_f32 v0, v0, 0.5, -v8
	v_fma_f32 v8, -v2, v6, v9
	v_fma_f32 v1, -v2, v6, v1
	ds_write_b32 v26, v8 offset:4
	ds_write_b32 v4, v1 offset:532
	v_fmac_f32_e32 v5, v2, v7
	v_fma_f32 v6, -v2, v7, v0
	v_mov_b32_e32 v2, v12
	v_mov_b32_e32 v3, v13
                                        ; implicit-def: $vgpr0_vgpr1
                                        ; implicit-def: $vgpr13
.LBB0_16:
	s_andn2_saveexec_b32 s0, s1
	s_cbranch_execz .LBB0_18
; %bb.17:
	v_mov_b32_e32 v2, 0
	s_waitcnt lgkmcnt(0)
	v_add_f32_e32 v5, v0, v1
	v_sub_f32_e32 v6, v0, v1
	ds_write_b32 v26, v2 offset:4
	ds_write_b32 v4, v2 offset:532
	ds_read_b32 v2, v13 offset:268
	s_waitcnt lgkmcnt(0)
	v_xor_b32_e32 v7, 0x80000000, v2
	v_mov_b32_e32 v2, 0
	v_mov_b32_e32 v3, 0
	ds_write_b32 v13, v7 offset:268
.LBB0_18:
	s_or_b32 exec_lo, exec_lo, s0
	s_waitcnt lgkmcnt(0)
	v_lshlrev_b64 v[0:1], 3, v[2:3]
	s_add_u32 s0, s8, 0x1e0
	s_addc_u32 s1, s9, 0
	v_add_co_u32 v2, s0, s0, v0
	v_add_co_ci_u32_e64 v3, s0, s1, v1, s0
	s_clause 0x1
	global_load_dwordx2 v[7:8], v[2:3], off offset:88
	global_load_dwordx2 v[2:3], v[2:3], off offset:176
	ds_write_b32 v26, v5
	ds_write_b32 v4, v6 offset:528
	ds_read_b64 v[5:6], v26 offset:88
	ds_read_b64 v[9:10], v4 offset:440
	s_waitcnt lgkmcnt(0)
	v_sub_f32_e32 v11, v5, v9
	v_add_f32_e32 v13, v6, v10
	v_sub_f32_e32 v6, v6, v10
	v_add_f32_e32 v5, v5, v9
	v_mul_f32_e32 v10, 0.5, v11
	v_mul_f32_e32 v11, 0.5, v13
	;; [unrolled: 1-line block ×3, first 2 shown]
	s_waitcnt vmcnt(1)
	v_mul_f32_e32 v9, v8, v10
	v_fma_f32 v13, v11, v8, v6
	v_fma_f32 v6, v11, v8, -v6
	v_fma_f32 v8, 0.5, v5, v9
	v_fma_f32 v5, v5, 0.5, -v9
	v_fma_f32 v9, -v7, v10, v13
	v_fma_f32 v6, -v7, v10, v6
	v_fmac_f32_e32 v8, v7, v11
	v_fma_f32 v5, -v7, v11, v5
	ds_write2_b32 v26, v8, v9 offset0:22 offset1:23
	ds_write_b64 v4, v[5:6] offset:440
	ds_read_b64 v[5:6], v26 offset:176
	ds_read_b64 v[7:8], v4 offset:352
	s_waitcnt lgkmcnt(0)
	v_sub_f32_e32 v9, v5, v7
	v_add_f32_e32 v10, v6, v8
	v_sub_f32_e32 v6, v6, v8
	v_add_f32_e32 v5, v5, v7
	v_mul_f32_e32 v8, 0.5, v9
	v_mul_f32_e32 v9, 0.5, v10
	v_mul_f32_e32 v6, 0.5, v6
	s_waitcnt vmcnt(0)
	v_mul_f32_e32 v7, v3, v8
	v_fma_f32 v10, v9, v3, v6
	v_fma_f32 v3, v9, v3, -v6
	v_fma_f32 v6, 0.5, v5, v7
	v_fma_f32 v5, v5, 0.5, -v7
	v_fma_f32 v7, -v2, v8, v10
	v_fma_f32 v3, -v2, v8, v3
	v_fmac_f32_e32 v6, v2, v9
	v_fma_f32 v2, -v2, v9, v5
	ds_write2_b32 v26, v6, v7 offset0:44 offset1:45
	ds_write_b64 v4, v[2:3] offset:352
	s_waitcnt lgkmcnt(0)
	s_barrier
	buffer_gl0_inv
	s_and_saveexec_b32 s0, vcc_lo
	s_cbranch_execz .LBB0_21
; %bb.19:
	ds_read2_b64 v[4:7], v26 offset1:11
	ds_read2_b64 v[8:11], v26 offset0:22 offset1:33
	ds_read2_b64 v[16:19], v26 offset0:44 offset1:55
	v_add_co_u32 v2, vcc_lo, s2, v14
	v_add_co_ci_u32_e32 v3, vcc_lo, s3, v15, vcc_lo
	v_add_co_u32 v0, vcc_lo, v2, v0
	v_add_co_ci_u32_e32 v1, vcc_lo, v3, v1, vcc_lo
	v_cmp_eq_u32_e32 vcc_lo, 10, v12
	s_waitcnt lgkmcnt(2)
	global_store_dwordx2 v[0:1], v[4:5], off
	global_store_dwordx2 v[0:1], v[6:7], off offset:88
	s_waitcnt lgkmcnt(1)
	global_store_dwordx2 v[0:1], v[8:9], off offset:176
	global_store_dwordx2 v[0:1], v[10:11], off offset:264
	s_waitcnt lgkmcnt(0)
	global_store_dwordx2 v[0:1], v[16:17], off offset:352
	global_store_dwordx2 v[0:1], v[18:19], off offset:440
	s_and_b32 exec_lo, exec_lo, vcc_lo
	s_cbranch_execz .LBB0_21
; %bb.20:
	ds_read_b64 v[0:1], v26 offset:448
	s_waitcnt lgkmcnt(0)
	global_store_dwordx2 v[2:3], v[0:1], off offset:528
.LBB0_21:
	s_endpgm
	.section	.rodata,"a",@progbits
	.p2align	6, 0x0
	.amdhsa_kernel fft_rtc_back_len66_factors_6_11_wgs_253_tpt_11_sp_ip_CI_unitstride_sbrr_R2C_dirReg
		.amdhsa_group_segment_fixed_size 0
		.amdhsa_private_segment_fixed_size 0
		.amdhsa_kernarg_size 88
		.amdhsa_user_sgpr_count 6
		.amdhsa_user_sgpr_private_segment_buffer 1
		.amdhsa_user_sgpr_dispatch_ptr 0
		.amdhsa_user_sgpr_queue_ptr 0
		.amdhsa_user_sgpr_kernarg_segment_ptr 1
		.amdhsa_user_sgpr_dispatch_id 0
		.amdhsa_user_sgpr_flat_scratch_init 0
		.amdhsa_user_sgpr_private_segment_size 0
		.amdhsa_wavefront_size32 1
		.amdhsa_uses_dynamic_stack 0
		.amdhsa_system_sgpr_private_segment_wavefront_offset 0
		.amdhsa_system_sgpr_workgroup_id_x 1
		.amdhsa_system_sgpr_workgroup_id_y 0
		.amdhsa_system_sgpr_workgroup_id_z 0
		.amdhsa_system_sgpr_workgroup_info 0
		.amdhsa_system_vgpr_workitem_id 0
		.amdhsa_next_free_vgpr 126
		.amdhsa_next_free_sgpr 21
		.amdhsa_reserve_vcc 1
		.amdhsa_reserve_flat_scratch 0
		.amdhsa_float_round_mode_32 0
		.amdhsa_float_round_mode_16_64 0
		.amdhsa_float_denorm_mode_32 3
		.amdhsa_float_denorm_mode_16_64 3
		.amdhsa_dx10_clamp 1
		.amdhsa_ieee_mode 1
		.amdhsa_fp16_overflow 0
		.amdhsa_workgroup_processor_mode 1
		.amdhsa_memory_ordered 1
		.amdhsa_forward_progress 0
		.amdhsa_shared_vgpr_count 0
		.amdhsa_exception_fp_ieee_invalid_op 0
		.amdhsa_exception_fp_denorm_src 0
		.amdhsa_exception_fp_ieee_div_zero 0
		.amdhsa_exception_fp_ieee_overflow 0
		.amdhsa_exception_fp_ieee_underflow 0
		.amdhsa_exception_fp_ieee_inexact 0
		.amdhsa_exception_int_div_zero 0
	.end_amdhsa_kernel
	.text
.Lfunc_end0:
	.size	fft_rtc_back_len66_factors_6_11_wgs_253_tpt_11_sp_ip_CI_unitstride_sbrr_R2C_dirReg, .Lfunc_end0-fft_rtc_back_len66_factors_6_11_wgs_253_tpt_11_sp_ip_CI_unitstride_sbrr_R2C_dirReg
                                        ; -- End function
	.section	.AMDGPU.csdata,"",@progbits
; Kernel info:
; codeLenInByte = 4888
; NumSgprs: 23
; NumVgprs: 126
; ScratchSize: 0
; MemoryBound: 0
; FloatMode: 240
; IeeeMode: 1
; LDSByteSize: 0 bytes/workgroup (compile time only)
; SGPRBlocks: 2
; VGPRBlocks: 15
; NumSGPRsForWavesPerEU: 23
; NumVGPRsForWavesPerEU: 126
; Occupancy: 8
; WaveLimiterHint : 1
; COMPUTE_PGM_RSRC2:SCRATCH_EN: 0
; COMPUTE_PGM_RSRC2:USER_SGPR: 6
; COMPUTE_PGM_RSRC2:TRAP_HANDLER: 0
; COMPUTE_PGM_RSRC2:TGID_X_EN: 1
; COMPUTE_PGM_RSRC2:TGID_Y_EN: 0
; COMPUTE_PGM_RSRC2:TGID_Z_EN: 0
; COMPUTE_PGM_RSRC2:TIDIG_COMP_CNT: 0
	.text
	.p2alignl 6, 3214868480
	.fill 48, 4, 3214868480
	.type	__hip_cuid_c3a7690cc79c1d7b,@object ; @__hip_cuid_c3a7690cc79c1d7b
	.section	.bss,"aw",@nobits
	.globl	__hip_cuid_c3a7690cc79c1d7b
__hip_cuid_c3a7690cc79c1d7b:
	.byte	0                               ; 0x0
	.size	__hip_cuid_c3a7690cc79c1d7b, 1

	.ident	"AMD clang version 19.0.0git (https://github.com/RadeonOpenCompute/llvm-project roc-6.4.0 25133 c7fe45cf4b819c5991fe208aaa96edf142730f1d)"
	.section	".note.GNU-stack","",@progbits
	.addrsig
	.addrsig_sym __hip_cuid_c3a7690cc79c1d7b
	.amdgpu_metadata
---
amdhsa.kernels:
  - .args:
      - .actual_access:  read_only
        .address_space:  global
        .offset:         0
        .size:           8
        .value_kind:     global_buffer
      - .offset:         8
        .size:           8
        .value_kind:     by_value
      - .actual_access:  read_only
        .address_space:  global
        .offset:         16
        .size:           8
        .value_kind:     global_buffer
      - .actual_access:  read_only
        .address_space:  global
        .offset:         24
        .size:           8
        .value_kind:     global_buffer
      - .offset:         32
        .size:           8
        .value_kind:     by_value
      - .actual_access:  read_only
        .address_space:  global
        .offset:         40
        .size:           8
        .value_kind:     global_buffer
      - .actual_access:  read_only
        .address_space:  global
        .offset:         48
        .size:           8
        .value_kind:     global_buffer
      - .offset:         56
        .size:           4
        .value_kind:     by_value
      - .actual_access:  read_only
        .address_space:  global
        .offset:         64
        .size:           8
        .value_kind:     global_buffer
      - .actual_access:  read_only
        .address_space:  global
        .offset:         72
        .size:           8
        .value_kind:     global_buffer
      - .address_space:  global
        .offset:         80
        .size:           8
        .value_kind:     global_buffer
    .group_segment_fixed_size: 0
    .kernarg_segment_align: 8
    .kernarg_segment_size: 88
    .language:       OpenCL C
    .language_version:
      - 2
      - 0
    .max_flat_workgroup_size: 253
    .name:           fft_rtc_back_len66_factors_6_11_wgs_253_tpt_11_sp_ip_CI_unitstride_sbrr_R2C_dirReg
    .private_segment_fixed_size: 0
    .sgpr_count:     23
    .sgpr_spill_count: 0
    .symbol:         fft_rtc_back_len66_factors_6_11_wgs_253_tpt_11_sp_ip_CI_unitstride_sbrr_R2C_dirReg.kd
    .uniform_work_group_size: 1
    .uses_dynamic_stack: false
    .vgpr_count:     126
    .vgpr_spill_count: 0
    .wavefront_size: 32
    .workgroup_processor_mode: 1
amdhsa.target:   amdgcn-amd-amdhsa--gfx1030
amdhsa.version:
  - 1
  - 2
...

	.end_amdgpu_metadata
